;; amdgpu-corpus repo=ROCm/rocFFT kind=compiled arch=gfx1030 opt=O3
	.text
	.amdgcn_target "amdgcn-amd-amdhsa--gfx1030"
	.amdhsa_code_object_version 6
	.protected	fft_rtc_back_len45_factors_5_3_3_wgs_120_tpt_15_halfLds_dp_ip_CI_sbrr_dirReg ; -- Begin function fft_rtc_back_len45_factors_5_3_3_wgs_120_tpt_15_halfLds_dp_ip_CI_sbrr_dirReg
	.globl	fft_rtc_back_len45_factors_5_3_3_wgs_120_tpt_15_halfLds_dp_ip_CI_sbrr_dirReg
	.p2align	8
	.type	fft_rtc_back_len45_factors_5_3_3_wgs_120_tpt_15_halfLds_dp_ip_CI_sbrr_dirReg,@function
fft_rtc_back_len45_factors_5_3_3_wgs_120_tpt_15_halfLds_dp_ip_CI_sbrr_dirReg: ; @fft_rtc_back_len45_factors_5_3_3_wgs_120_tpt_15_halfLds_dp_ip_CI_sbrr_dirReg
; %bb.0:
	s_clause 0x2
	s_load_dwordx2 s[14:15], s[4:5], 0x18
	s_load_dwordx4 s[8:11], s[4:5], 0x0
	s_load_dwordx2 s[2:3], s[4:5], 0x50
	v_mul_u32_u24_e32 v1, 0x1112, v0
	v_mov_b32_e32 v3, 0
	v_lshrrev_b32_e32 v20, 16, v1
	v_mov_b32_e32 v1, 0
	v_mov_b32_e32 v6, v3
	v_mov_b32_e32 v2, 0
	v_lshl_add_u32 v5, s6, 3, v20
	s_waitcnt lgkmcnt(0)
	s_load_dwordx2 s[12:13], s[14:15], 0x0
	v_cmp_lt_u64_e64 s0, s[10:11], 2
	s_and_b32 vcc_lo, exec_lo, s0
	s_cbranch_vccnz .LBB0_8
; %bb.1:
	s_load_dwordx2 s[0:1], s[4:5], 0x10
	v_mov_b32_e32 v1, 0
	s_add_u32 s6, s14, 8
	v_mov_b32_e32 v2, 0
	s_addc_u32 s7, s15, 0
	s_mov_b64 s[18:19], 1
	s_waitcnt lgkmcnt(0)
	s_add_u32 s16, s0, 8
	s_addc_u32 s17, s1, 0
.LBB0_2:                                ; =>This Inner Loop Header: Depth=1
	s_load_dwordx2 s[20:21], s[16:17], 0x0
                                        ; implicit-def: $vgpr7_vgpr8
	s_mov_b32 s0, exec_lo
	s_waitcnt lgkmcnt(0)
	v_or_b32_e32 v4, s21, v6
	v_cmpx_ne_u64_e32 0, v[3:4]
	s_xor_b32 s1, exec_lo, s0
	s_cbranch_execz .LBB0_4
; %bb.3:                                ;   in Loop: Header=BB0_2 Depth=1
	v_cvt_f32_u32_e32 v4, s20
	v_cvt_f32_u32_e32 v7, s21
	s_sub_u32 s0, 0, s20
	s_subb_u32 s22, 0, s21
	v_fmac_f32_e32 v4, 0x4f800000, v7
	v_rcp_f32_e32 v4, v4
	v_mul_f32_e32 v4, 0x5f7ffffc, v4
	v_mul_f32_e32 v7, 0x2f800000, v4
	v_trunc_f32_e32 v7, v7
	v_fmac_f32_e32 v4, 0xcf800000, v7
	v_cvt_u32_f32_e32 v7, v7
	v_cvt_u32_f32_e32 v4, v4
	v_mul_lo_u32 v8, s0, v7
	v_mul_hi_u32 v9, s0, v4
	v_mul_lo_u32 v10, s22, v4
	v_add_nc_u32_e32 v8, v9, v8
	v_mul_lo_u32 v9, s0, v4
	v_add_nc_u32_e32 v8, v8, v10
	v_mul_hi_u32 v10, v4, v9
	v_mul_lo_u32 v11, v4, v8
	v_mul_hi_u32 v12, v4, v8
	v_mul_hi_u32 v13, v7, v9
	v_mul_lo_u32 v9, v7, v9
	v_mul_hi_u32 v14, v7, v8
	v_mul_lo_u32 v8, v7, v8
	v_add_co_u32 v10, vcc_lo, v10, v11
	v_add_co_ci_u32_e32 v11, vcc_lo, 0, v12, vcc_lo
	v_add_co_u32 v9, vcc_lo, v10, v9
	v_add_co_ci_u32_e32 v9, vcc_lo, v11, v13, vcc_lo
	v_add_co_ci_u32_e32 v10, vcc_lo, 0, v14, vcc_lo
	v_add_co_u32 v8, vcc_lo, v9, v8
	v_add_co_ci_u32_e32 v9, vcc_lo, 0, v10, vcc_lo
	v_add_co_u32 v4, vcc_lo, v4, v8
	v_add_co_ci_u32_e32 v7, vcc_lo, v7, v9, vcc_lo
	v_mul_hi_u32 v8, s0, v4
	v_mul_lo_u32 v10, s22, v4
	v_mul_lo_u32 v9, s0, v7
	v_add_nc_u32_e32 v8, v8, v9
	v_mul_lo_u32 v9, s0, v4
	v_add_nc_u32_e32 v8, v8, v10
	v_mul_hi_u32 v10, v4, v9
	v_mul_lo_u32 v11, v4, v8
	v_mul_hi_u32 v12, v4, v8
	v_mul_hi_u32 v13, v7, v9
	v_mul_lo_u32 v9, v7, v9
	v_mul_hi_u32 v14, v7, v8
	v_mul_lo_u32 v8, v7, v8
	v_add_co_u32 v10, vcc_lo, v10, v11
	v_add_co_ci_u32_e32 v11, vcc_lo, 0, v12, vcc_lo
	v_add_co_u32 v9, vcc_lo, v10, v9
	v_add_co_ci_u32_e32 v9, vcc_lo, v11, v13, vcc_lo
	v_add_co_ci_u32_e32 v10, vcc_lo, 0, v14, vcc_lo
	v_add_co_u32 v8, vcc_lo, v9, v8
	v_add_co_ci_u32_e32 v9, vcc_lo, 0, v10, vcc_lo
	v_add_co_u32 v4, vcc_lo, v4, v8
	v_add_co_ci_u32_e32 v11, vcc_lo, v7, v9, vcc_lo
	v_mul_hi_u32 v13, v5, v4
	v_mad_u64_u32 v[9:10], null, v6, v4, 0
	v_mad_u64_u32 v[7:8], null, v5, v11, 0
	;; [unrolled: 1-line block ×3, first 2 shown]
	v_add_co_u32 v4, vcc_lo, v13, v7
	v_add_co_ci_u32_e32 v7, vcc_lo, 0, v8, vcc_lo
	v_add_co_u32 v4, vcc_lo, v4, v9
	v_add_co_ci_u32_e32 v4, vcc_lo, v7, v10, vcc_lo
	v_add_co_ci_u32_e32 v7, vcc_lo, 0, v12, vcc_lo
	v_add_co_u32 v4, vcc_lo, v4, v11
	v_add_co_ci_u32_e32 v9, vcc_lo, 0, v7, vcc_lo
	v_mul_lo_u32 v10, s21, v4
	v_mad_u64_u32 v[7:8], null, s20, v4, 0
	v_mul_lo_u32 v11, s20, v9
	v_sub_co_u32 v7, vcc_lo, v5, v7
	v_add3_u32 v8, v8, v11, v10
	v_sub_nc_u32_e32 v10, v6, v8
	v_subrev_co_ci_u32_e64 v10, s0, s21, v10, vcc_lo
	v_add_co_u32 v11, s0, v4, 2
	v_add_co_ci_u32_e64 v12, s0, 0, v9, s0
	v_sub_co_u32 v13, s0, v7, s20
	v_sub_co_ci_u32_e32 v8, vcc_lo, v6, v8, vcc_lo
	v_subrev_co_ci_u32_e64 v10, s0, 0, v10, s0
	v_cmp_le_u32_e32 vcc_lo, s20, v13
	v_cmp_eq_u32_e64 s0, s21, v8
	v_cndmask_b32_e64 v13, 0, -1, vcc_lo
	v_cmp_le_u32_e32 vcc_lo, s21, v10
	v_cndmask_b32_e64 v14, 0, -1, vcc_lo
	v_cmp_le_u32_e32 vcc_lo, s20, v7
	;; [unrolled: 2-line block ×3, first 2 shown]
	v_cndmask_b32_e64 v15, 0, -1, vcc_lo
	v_cmp_eq_u32_e32 vcc_lo, s21, v10
	v_cndmask_b32_e64 v7, v15, v7, s0
	v_cndmask_b32_e32 v10, v14, v13, vcc_lo
	v_add_co_u32 v13, vcc_lo, v4, 1
	v_add_co_ci_u32_e32 v14, vcc_lo, 0, v9, vcc_lo
	v_cmp_ne_u32_e32 vcc_lo, 0, v10
	v_cndmask_b32_e32 v8, v14, v12, vcc_lo
	v_cndmask_b32_e32 v10, v13, v11, vcc_lo
	v_cmp_ne_u32_e32 vcc_lo, 0, v7
	v_cndmask_b32_e32 v8, v9, v8, vcc_lo
	v_cndmask_b32_e32 v7, v4, v10, vcc_lo
.LBB0_4:                                ;   in Loop: Header=BB0_2 Depth=1
	s_andn2_saveexec_b32 s0, s1
	s_cbranch_execz .LBB0_6
; %bb.5:                                ;   in Loop: Header=BB0_2 Depth=1
	v_cvt_f32_u32_e32 v4, s20
	s_sub_i32 s1, 0, s20
	v_rcp_iflag_f32_e32 v4, v4
	v_mul_f32_e32 v4, 0x4f7ffffe, v4
	v_cvt_u32_f32_e32 v4, v4
	v_mul_lo_u32 v7, s1, v4
	v_mul_hi_u32 v7, v4, v7
	v_add_nc_u32_e32 v4, v4, v7
	v_mul_hi_u32 v4, v5, v4
	v_mul_lo_u32 v7, v4, s20
	v_add_nc_u32_e32 v8, 1, v4
	v_sub_nc_u32_e32 v7, v5, v7
	v_subrev_nc_u32_e32 v9, s20, v7
	v_cmp_le_u32_e32 vcc_lo, s20, v7
	v_cndmask_b32_e32 v7, v7, v9, vcc_lo
	v_cndmask_b32_e32 v4, v4, v8, vcc_lo
	v_cmp_le_u32_e32 vcc_lo, s20, v7
	v_add_nc_u32_e32 v8, 1, v4
	v_cndmask_b32_e32 v7, v4, v8, vcc_lo
	v_mov_b32_e32 v8, v3
.LBB0_6:                                ;   in Loop: Header=BB0_2 Depth=1
	s_or_b32 exec_lo, exec_lo, s0
	s_load_dwordx2 s[0:1], s[6:7], 0x0
	v_mul_lo_u32 v4, v8, s20
	v_mul_lo_u32 v11, v7, s21
	v_mad_u64_u32 v[9:10], null, v7, s20, 0
	s_add_u32 s18, s18, 1
	s_addc_u32 s19, s19, 0
	s_add_u32 s6, s6, 8
	s_addc_u32 s7, s7, 0
	s_add_u32 s16, s16, 8
	s_addc_u32 s17, s17, 0
	v_add3_u32 v4, v10, v11, v4
	v_sub_co_u32 v5, vcc_lo, v5, v9
	v_sub_co_ci_u32_e32 v4, vcc_lo, v6, v4, vcc_lo
	s_waitcnt lgkmcnt(0)
	v_mul_lo_u32 v6, s1, v5
	v_mul_lo_u32 v4, s0, v4
	v_mad_u64_u32 v[1:2], null, s0, v5, v[1:2]
	v_cmp_ge_u64_e64 s0, s[18:19], s[10:11]
	s_and_b32 vcc_lo, exec_lo, s0
	v_add3_u32 v2, v6, v2, v4
	s_cbranch_vccnz .LBB0_9
; %bb.7:                                ;   in Loop: Header=BB0_2 Depth=1
	v_mov_b32_e32 v5, v7
	v_mov_b32_e32 v6, v8
	s_branch .LBB0_2
.LBB0_8:
	v_mov_b32_e32 v8, v6
	v_mov_b32_e32 v7, v5
.LBB0_9:
	s_lshl_b64 s[0:1], s[10:11], 3
	v_mul_hi_u32 v3, 0x11111112, v0
	s_add_u32 s0, s14, s0
	s_addc_u32 s1, s15, s1
	v_mov_b32_e32 v27, 0
	s_load_dwordx2 s[0:1], s[0:1], 0x0
	s_load_dwordx2 s[4:5], s[4:5], 0x20
                                        ; implicit-def: $vgpr10_vgpr11
                                        ; implicit-def: $vgpr14_vgpr15
                                        ; implicit-def: $vgpr18_vgpr19
	s_waitcnt lgkmcnt(0)
	v_mul_lo_u32 v4, s0, v8
	v_mul_lo_u32 v5, s1, v7
	v_mad_u64_u32 v[24:25], null, s0, v7, v[1:2]
	v_mul_u32_u24_e32 v1, 15, v3
	v_cmp_gt_u64_e32 vcc_lo, s[4:5], v[7:8]
                                        ; implicit-def: $vgpr2_vgpr3
                                        ; implicit-def: $vgpr6_vgpr7
	v_sub_nc_u32_e32 v26, v0, v1
	v_add3_u32 v25, v5, v25, v4
	s_and_saveexec_b32 s1, vcc_lo
	s_cbranch_execz .LBB0_13
; %bb.10:
	s_mov_b32 s4, exec_lo
                                        ; implicit-def: $vgpr16_vgpr17
                                        ; implicit-def: $vgpr12_vgpr13
                                        ; implicit-def: $vgpr8_vgpr9
                                        ; implicit-def: $vgpr4_vgpr5
                                        ; implicit-def: $vgpr0_vgpr1
	v_cmpx_gt_u32_e32 9, v26
	s_cbranch_execz .LBB0_12
; %bb.11:
	v_add_nc_u32_e32 v11, 9, v26
	v_mad_u64_u32 v[0:1], null, s12, v26, 0
	v_add_nc_u32_e32 v13, 18, v26
	v_lshlrev_b64 v[2:3], 4, v[24:25]
	v_mad_u64_u32 v[4:5], null, s12, v11, 0
	v_add_nc_u32_e32 v14, 27, v26
	v_mad_u64_u32 v[6:7], null, s12, v13, 0
	v_mad_u64_u32 v[8:9], null, s13, v26, v[1:2]
	;; [unrolled: 1-line block ×3, first 2 shown]
	v_mov_b32_e32 v1, v5
	v_add_nc_u32_e32 v15, 36, v26
	v_mov_b32_e32 v5, v7
	v_add_co_u32 v16, s0, s2, v2
	v_mad_u64_u32 v[11:12], null, s13, v11, v[1:2]
	v_mov_b32_e32 v1, v8
	v_mad_u64_u32 v[7:8], null, s13, v13, v[5:6]
	v_mad_u64_u32 v[12:13], null, s12, v15, 0
	v_mov_b32_e32 v2, v10
	v_mov_b32_e32 v5, v11
	v_add_co_ci_u32_e64 v17, s0, s3, v3, s0
	v_lshlrev_b64 v[0:1], 4, v[0:1]
	v_mad_u64_u32 v[2:3], null, s13, v14, v[2:3]
	v_lshlrev_b64 v[4:5], 4, v[4:5]
	v_mov_b32_e32 v3, v13
	v_lshlrev_b64 v[6:7], 4, v[6:7]
	v_add_co_u32 v0, s0, v16, v0
	v_add_co_ci_u32_e64 v1, s0, v17, v1, s0
	v_mad_u64_u32 v[13:14], null, s13, v15, v[3:4]
	v_mov_b32_e32 v10, v2
	v_add_co_u32 v2, s0, v16, v4
	v_add_co_ci_u32_e64 v3, s0, v17, v5, s0
	v_lshlrev_b64 v[4:5], 4, v[9:10]
	v_add_co_u32 v6, s0, v16, v6
	v_lshlrev_b64 v[8:9], 4, v[12:13]
	v_add_co_ci_u32_e64 v7, s0, v17, v7, s0
	v_add_co_u32 v4, s0, v16, v4
	v_add_co_ci_u32_e64 v5, s0, v17, v5, s0
	v_add_co_u32 v21, s0, v16, v8
	v_add_co_ci_u32_e64 v22, s0, v17, v9, s0
	s_clause 0x4
	global_load_dwordx4 v[16:19], v[0:1], off
	global_load_dwordx4 v[12:15], v[2:3], off
	;; [unrolled: 1-line block ×5, first 2 shown]
.LBB0_12:
	s_or_b32 exec_lo, exec_lo, s4
	v_mov_b32_e32 v27, v26
.LBB0_13:
	s_or_b32 exec_lo, exec_lo, s1
	v_and_b32_e32 v20, 7, v20
	v_cmp_gt_u32_e64 s0, 9, v26
	v_mul_u32_u24_e32 v20, 45, v20
	v_lshlrev_b32_e32 v28, 3, v20
	s_and_saveexec_b32 s1, s0
	s_cbranch_execz .LBB0_15
; %bb.14:
	s_waitcnt vmcnt(0)
	v_add_f64 v[20:21], v[0:1], v[12:13]
	v_add_f64 v[22:23], v[4:5], v[8:9]
	v_add_f64 v[29:30], v[14:15], -v[2:3]
	v_add_f64 v[33:34], v[12:13], v[16:17]
	v_add_f64 v[31:32], v[10:11], -v[6:7]
	s_mov_b32 s4, 0x134454ff
	s_mov_b32 s5, 0xbfee6f0e
	;; [unrolled: 1-line block ×4, first 2 shown]
	v_add_f64 v[35:36], v[4:5], -v[0:1]
	v_add_f64 v[37:38], v[12:13], -v[8:9]
	;; [unrolled: 1-line block ×3, first 2 shown]
	v_fma_f64 v[20:21], v[20:21], -0.5, v[16:17]
	v_fma_f64 v[16:17], v[22:23], -0.5, v[16:17]
	v_add_f64 v[22:23], v[8:9], -v[12:13]
	v_add_f64 v[33:34], v[8:9], v[33:34]
	v_fma_f64 v[41:42], v[31:32], s[4:5], v[20:21]
	v_fma_f64 v[43:44], v[29:30], s[4:5], v[16:17]
	;; [unrolled: 1-line block ×4, first 2 shown]
	s_mov_b32 s4, 0x4755a5e
	s_mov_b32 s5, 0x3fe2cf23
	;; [unrolled: 1-line block ×4, first 2 shown]
	v_add_f64 v[22:23], v[35:36], v[22:23]
	v_add_f64 v[35:36], v[39:40], v[37:38]
	;; [unrolled: 1-line block ×3, first 2 shown]
	v_fma_f64 v[37:38], v[29:30], s[4:5], v[41:42]
	v_fma_f64 v[39:40], v[31:32], s[6:7], v[43:44]
	v_fma_f64 v[20:21], v[29:30], s[6:7], v[20:21]
	v_fma_f64 v[16:17], v[31:32], s[4:5], v[16:17]
	s_mov_b32 s4, 0x372fe950
	s_mov_b32 s5, 0x3fd3c6ef
	v_add_f64 v[29:30], v[0:1], v[33:34]
	v_fma_f64 v[31:32], v[22:23], s[4:5], v[37:38]
	v_fma_f64 v[33:34], v[35:36], s[4:5], v[39:40]
	;; [unrolled: 1-line block ×4, first 2 shown]
	v_mul_u32_u24_e32 v22, 40, v26
	v_add3_u32 v22, 0, v22, v28
	ds_write2_b64 v22, v[29:30], v[33:34] offset1:1
	ds_write2_b64 v22, v[20:21], v[31:32] offset0:2 offset1:3
	ds_write_b64 v22, v[16:17] offset:32
.LBB0_15:
	s_or_b32 exec_lo, exec_lo, s1
	s_waitcnt vmcnt(4)
	v_lshlrev_b32_e32 v16, 3, v26
	s_waitcnt vmcnt(0) lgkmcnt(0)
	s_barrier
	buffer_gl0_inv
	v_add_nc_u32_e32 v31, 0, v16
	v_add3_u32 v29, 0, v28, v16
	v_add_nc_u32_e32 v30, v31, v28
	ds_read_b64 v[16:17], v29
	ds_read2_b64 v[20:23], v30 offset0:15 offset1:30
	s_waitcnt lgkmcnt(0)
	s_barrier
	buffer_gl0_inv
	s_and_saveexec_b32 s1, s0
	s_cbranch_execz .LBB0_17
; %bb.16:
	v_add_f64 v[32:33], v[6:7], v[10:11]
	v_add_f64 v[34:35], v[2:3], v[14:15]
	v_add_f64 v[36:37], v[14:15], v[18:19]
	v_add_f64 v[0:1], v[12:13], -v[0:1]
	v_add_f64 v[4:5], v[8:9], -v[4:5]
	s_mov_b32 s4, 0x134454ff
	s_mov_b32 s5, 0x3fee6f0e
	;; [unrolled: 1-line block ×4, first 2 shown]
	v_fma_f64 v[8:9], v[32:33], -0.5, v[18:19]
	v_fma_f64 v[12:13], v[34:35], -0.5, v[18:19]
	v_add_f64 v[18:19], v[14:15], -v[10:11]
	v_add_f64 v[32:33], v[2:3], -v[6:7]
	;; [unrolled: 1-line block ×3, first 2 shown]
	v_add_f64 v[10:11], v[10:11], v[36:37]
	v_add_f64 v[34:35], v[6:7], -v[2:3]
	v_fma_f64 v[36:37], v[0:1], s[4:5], v[8:9]
	v_fma_f64 v[38:39], v[4:5], s[6:7], v[12:13]
	v_fma_f64 v[12:13], v[4:5], s[4:5], v[12:13]
	v_fma_f64 v[8:9], v[0:1], s[6:7], v[8:9]
	s_mov_b32 s4, 0x4755a5e
	s_mov_b32 s5, 0x3fe2cf23
	;; [unrolled: 1-line block ×4, first 2 shown]
	v_add_f64 v[18:19], v[32:33], v[18:19]
	v_add_f64 v[6:7], v[6:7], v[10:11]
	;; [unrolled: 1-line block ×3, first 2 shown]
	v_fma_f64 v[10:11], v[4:5], s[4:5], v[36:37]
	v_fma_f64 v[32:33], v[0:1], s[4:5], v[38:39]
	;; [unrolled: 1-line block ×4, first 2 shown]
	s_mov_b32 s4, 0x372fe950
	s_mov_b32 s5, 0x3fd3c6ef
	v_add_f64 v[2:3], v[2:3], v[6:7]
	v_fma_f64 v[6:7], v[18:19], s[4:5], v[10:11]
	v_fma_f64 v[8:9], v[14:15], s[4:5], v[32:33]
	;; [unrolled: 1-line block ×4, first 2 shown]
	v_lshlrev_b32_e32 v10, 5, v26
	v_add3_u32 v10, v31, v10, v28
	ds_write2_b64 v10, v[2:3], v[6:7] offset1:1
	ds_write2_b64 v10, v[8:9], v[0:1] offset0:2 offset1:3
	ds_write_b64 v10, v[4:5] offset:32
.LBB0_17:
	s_or_b32 exec_lo, exec_lo, s1
	v_and_b32_e32 v0, 0xff, v26
	v_mov_b32_e32 v1, 5
	s_waitcnt lgkmcnt(0)
	s_barrier
	buffer_gl0_inv
	v_mul_lo_u16 v0, 0xcd, v0
	s_mov_b32 s0, 0xe8584caa
	s_mov_b32 s1, 0xbfebb67a
	;; [unrolled: 1-line block ×4, first 2 shown]
	v_lshrrev_b16 v31, 10, v0
	v_mul_lo_u16 v0, v31, 5
	v_sub_nc_u16 v32, v26, v0
	v_lshlrev_b32_sdwa v4, v1, v32 dst_sel:DWORD dst_unused:UNUSED_PAD src0_sel:DWORD src1_sel:BYTE_0
	s_clause 0x1
	global_load_dwordx4 v[0:3], v4, s[8:9]
	global_load_dwordx4 v[4:7], v4, s[8:9] offset:16
	ds_read2_b64 v[8:11], v30 offset0:15 offset1:30
	s_waitcnt vmcnt(1) lgkmcnt(0)
	v_mul_f64 v[12:13], v[8:9], v[2:3]
	s_waitcnt vmcnt(0)
	v_mul_f64 v[14:15], v[10:11], v[6:7]
	v_mul_f64 v[2:3], v[20:21], v[2:3]
	;; [unrolled: 1-line block ×3, first 2 shown]
	v_fma_f64 v[12:13], v[20:21], v[0:1], v[12:13]
	v_fma_f64 v[14:15], v[22:23], v[4:5], v[14:15]
	v_fma_f64 v[0:1], v[8:9], v[0:1], -v[2:3]
	v_fma_f64 v[2:3], v[10:11], v[4:5], -v[6:7]
	ds_read_b64 v[6:7], v29
	s_waitcnt lgkmcnt(0)
	s_barrier
	buffer_gl0_inv
	v_add_f64 v[8:9], v[16:17], v[12:13]
	v_add_f64 v[4:5], v[12:13], v[14:15]
	v_add_f64 v[12:13], v[12:13], -v[14:15]
	v_add_f64 v[10:11], v[0:1], v[2:3]
	v_add_f64 v[18:19], v[0:1], -v[2:3]
	v_add_f64 v[0:1], v[6:7], v[0:1]
	v_add_f64 v[8:9], v[8:9], v[14:15]
	v_fma_f64 v[4:5], v[4:5], -0.5, v[16:17]
	v_and_b32_e32 v14, 0xffff, v31
	v_fma_f64 v[6:7], v[10:11], -0.5, v[6:7]
	v_mov_b32_e32 v15, 3
	v_mad_u32_u24 v14, 0x78, v14, 0
	v_lshlrev_b32_sdwa v15, v15, v32 dst_sel:DWORD dst_unused:UNUSED_PAD src0_sel:DWORD src1_sel:BYTE_0
	v_fma_f64 v[10:11], v[18:19], s[0:1], v[4:5]
	v_fma_f64 v[4:5], v[18:19], s[4:5], v[4:5]
	v_add3_u32 v18, v14, v15, v28
	v_add_f64 v[14:15], v[0:1], v[2:3]
	v_fma_f64 v[16:17], v[12:13], s[4:5], v[6:7]
	v_fma_f64 v[6:7], v[12:13], s[0:1], v[6:7]
	ds_write2_b64 v18, v[8:9], v[10:11] offset1:5
	ds_write_b64 v18, v[4:5] offset:80
	s_waitcnt lgkmcnt(0)
	s_barrier
	buffer_gl0_inv
	ds_read_b64 v[4:5], v29
	ds_read2_b64 v[0:3], v30 offset0:15 offset1:30
	s_waitcnt lgkmcnt(0)
	s_barrier
	buffer_gl0_inv
	ds_write2_b64 v18, v[14:15], v[16:17] offset1:5
	ds_write_b64 v18, v[6:7] offset:80
	s_waitcnt lgkmcnt(0)
	s_barrier
	buffer_gl0_inv
	s_and_saveexec_b32 s6, vcc_lo
	s_cbranch_execz .LBB0_19
; %bb.18:
	v_lshlrev_b32_e32 v6, 1, v26
	v_mov_b32_e32 v7, 0
	v_add_nc_u32_e32 v26, 15, v27
	v_add_nc_u32_e32 v32, 30, v27
	v_lshlrev_b64 v[24:25], 4, v[24:25]
	v_lshlrev_b64 v[6:7], 4, v[6:7]
	v_add_co_u32 v10, vcc_lo, s8, v6
	v_add_co_ci_u32_e32 v11, vcc_lo, s9, v7, vcc_lo
	s_clause 0x1
	global_load_dwordx4 v[6:9], v[10:11], off offset:160
	global_load_dwordx4 v[10:13], v[10:11], off offset:176
	ds_read2_b64 v[14:17], v30 offset0:15 offset1:30
	s_waitcnt vmcnt(1)
	v_mul_f64 v[18:19], v[0:1], v[8:9]
	s_waitcnt vmcnt(0)
	v_mul_f64 v[20:21], v[2:3], v[12:13]
	s_waitcnt lgkmcnt(0)
	v_mul_f64 v[8:9], v[14:15], v[8:9]
	v_mul_f64 v[12:13], v[16:17], v[12:13]
	v_fma_f64 v[14:15], v[14:15], v[6:7], -v[18:19]
	v_fma_f64 v[16:17], v[16:17], v[10:11], -v[20:21]
	v_fma_f64 v[0:1], v[0:1], v[6:7], v[8:9]
	v_fma_f64 v[6:7], v[2:3], v[10:11], v[12:13]
	ds_read_b64 v[2:3], v29
	v_mad_u64_u32 v[12:13], null, s12, v27, 0
	v_mad_u64_u32 v[18:19], null, s12, v26, 0
	v_mad_u64_u32 v[20:21], null, s12, v32, 0
	v_add_f64 v[8:9], v[14:15], v[16:17]
	s_waitcnt lgkmcnt(0)
	v_add_f64 v[28:29], v[2:3], v[14:15]
	v_add_f64 v[10:11], v[0:1], v[6:7]
	v_add_f64 v[14:15], v[14:15], -v[16:17]
	v_add_f64 v[22:23], v[0:1], -v[6:7]
	v_add_f64 v[0:1], v[4:5], v[0:1]
	v_fma_f64 v[8:9], v[8:9], -0.5, v[2:3]
	v_fma_f64 v[30:31], v[10:11], -0.5, v[4:5]
	v_mad_u64_u32 v[2:3], null, s13, v27, v[13:14]
	v_mov_b32_e32 v3, v19
	v_mov_b32_e32 v4, v21
	v_add_f64 v[0:1], v[0:1], v[6:7]
	v_mad_u64_u32 v[10:11], null, s13, v26, v[3:4]
	v_mad_u64_u32 v[3:4], null, s13, v32, v[4:5]
	v_mov_b32_e32 v13, v2
	v_mov_b32_e32 v19, v10
	v_lshlrev_b64 v[12:13], 4, v[12:13]
	v_mov_b32_e32 v21, v3
	v_add_f64 v[2:3], v[28:29], v[16:17]
	v_fma_f64 v[6:7], v[22:23], s[0:1], v[8:9]
	v_fma_f64 v[10:11], v[22:23], s[4:5], v[8:9]
	;; [unrolled: 1-line block ×4, first 2 shown]
	v_add_co_u32 v22, vcc_lo, s2, v24
	v_add_co_ci_u32_e32 v23, vcc_lo, s3, v25, vcc_lo
	v_lshlrev_b64 v[14:15], 4, v[18:19]
	v_lshlrev_b64 v[16:17], 4, v[20:21]
	v_add_co_u32 v12, vcc_lo, v22, v12
	v_add_co_ci_u32_e32 v13, vcc_lo, v23, v13, vcc_lo
	v_add_co_u32 v14, vcc_lo, v22, v14
	v_add_co_ci_u32_e32 v15, vcc_lo, v23, v15, vcc_lo
	;; [unrolled: 2-line block ×3, first 2 shown]
	global_store_dwordx4 v[12:13], v[0:3], off
	global_store_dwordx4 v[14:15], v[8:11], off
	;; [unrolled: 1-line block ×3, first 2 shown]
.LBB0_19:
	s_endpgm
	.section	.rodata,"a",@progbits
	.p2align	6, 0x0
	.amdhsa_kernel fft_rtc_back_len45_factors_5_3_3_wgs_120_tpt_15_halfLds_dp_ip_CI_sbrr_dirReg
		.amdhsa_group_segment_fixed_size 0
		.amdhsa_private_segment_fixed_size 0
		.amdhsa_kernarg_size 88
		.amdhsa_user_sgpr_count 6
		.amdhsa_user_sgpr_private_segment_buffer 1
		.amdhsa_user_sgpr_dispatch_ptr 0
		.amdhsa_user_sgpr_queue_ptr 0
		.amdhsa_user_sgpr_kernarg_segment_ptr 1
		.amdhsa_user_sgpr_dispatch_id 0
		.amdhsa_user_sgpr_flat_scratch_init 0
		.amdhsa_user_sgpr_private_segment_size 0
		.amdhsa_wavefront_size32 1
		.amdhsa_uses_dynamic_stack 0
		.amdhsa_system_sgpr_private_segment_wavefront_offset 0
		.amdhsa_system_sgpr_workgroup_id_x 1
		.amdhsa_system_sgpr_workgroup_id_y 0
		.amdhsa_system_sgpr_workgroup_id_z 0
		.amdhsa_system_sgpr_workgroup_info 0
		.amdhsa_system_vgpr_workitem_id 0
		.amdhsa_next_free_vgpr 45
		.amdhsa_next_free_sgpr 23
		.amdhsa_reserve_vcc 1
		.amdhsa_reserve_flat_scratch 0
		.amdhsa_float_round_mode_32 0
		.amdhsa_float_round_mode_16_64 0
		.amdhsa_float_denorm_mode_32 3
		.amdhsa_float_denorm_mode_16_64 3
		.amdhsa_dx10_clamp 1
		.amdhsa_ieee_mode 1
		.amdhsa_fp16_overflow 0
		.amdhsa_workgroup_processor_mode 1
		.amdhsa_memory_ordered 1
		.amdhsa_forward_progress 0
		.amdhsa_shared_vgpr_count 0
		.amdhsa_exception_fp_ieee_invalid_op 0
		.amdhsa_exception_fp_denorm_src 0
		.amdhsa_exception_fp_ieee_div_zero 0
		.amdhsa_exception_fp_ieee_overflow 0
		.amdhsa_exception_fp_ieee_underflow 0
		.amdhsa_exception_fp_ieee_inexact 0
		.amdhsa_exception_int_div_zero 0
	.end_amdhsa_kernel
	.text
.Lfunc_end0:
	.size	fft_rtc_back_len45_factors_5_3_3_wgs_120_tpt_15_halfLds_dp_ip_CI_sbrr_dirReg, .Lfunc_end0-fft_rtc_back_len45_factors_5_3_3_wgs_120_tpt_15_halfLds_dp_ip_CI_sbrr_dirReg
                                        ; -- End function
	.section	.AMDGPU.csdata,"",@progbits
; Kernel info:
; codeLenInByte = 3192
; NumSgprs: 25
; NumVgprs: 45
; ScratchSize: 0
; MemoryBound: 1
; FloatMode: 240
; IeeeMode: 1
; LDSByteSize: 0 bytes/workgroup (compile time only)
; SGPRBlocks: 3
; VGPRBlocks: 5
; NumSGPRsForWavesPerEU: 25
; NumVGPRsForWavesPerEU: 45
; Occupancy: 16
; WaveLimiterHint : 1
; COMPUTE_PGM_RSRC2:SCRATCH_EN: 0
; COMPUTE_PGM_RSRC2:USER_SGPR: 6
; COMPUTE_PGM_RSRC2:TRAP_HANDLER: 0
; COMPUTE_PGM_RSRC2:TGID_X_EN: 1
; COMPUTE_PGM_RSRC2:TGID_Y_EN: 0
; COMPUTE_PGM_RSRC2:TGID_Z_EN: 0
; COMPUTE_PGM_RSRC2:TIDIG_COMP_CNT: 0
	.text
	.p2alignl 6, 3214868480
	.fill 48, 4, 3214868480
	.type	__hip_cuid_1eae860b47a677e4,@object ; @__hip_cuid_1eae860b47a677e4
	.section	.bss,"aw",@nobits
	.globl	__hip_cuid_1eae860b47a677e4
__hip_cuid_1eae860b47a677e4:
	.byte	0                               ; 0x0
	.size	__hip_cuid_1eae860b47a677e4, 1

	.ident	"AMD clang version 19.0.0git (https://github.com/RadeonOpenCompute/llvm-project roc-6.4.0 25133 c7fe45cf4b819c5991fe208aaa96edf142730f1d)"
	.section	".note.GNU-stack","",@progbits
	.addrsig
	.addrsig_sym __hip_cuid_1eae860b47a677e4
	.amdgpu_metadata
---
amdhsa.kernels:
  - .args:
      - .actual_access:  read_only
        .address_space:  global
        .offset:         0
        .size:           8
        .value_kind:     global_buffer
      - .offset:         8
        .size:           8
        .value_kind:     by_value
      - .actual_access:  read_only
        .address_space:  global
        .offset:         16
        .size:           8
        .value_kind:     global_buffer
      - .actual_access:  read_only
        .address_space:  global
        .offset:         24
        .size:           8
        .value_kind:     global_buffer
      - .offset:         32
        .size:           8
        .value_kind:     by_value
      - .actual_access:  read_only
        .address_space:  global
        .offset:         40
        .size:           8
        .value_kind:     global_buffer
      - .actual_access:  read_only
        .address_space:  global
        .offset:         48
        .size:           8
        .value_kind:     global_buffer
      - .offset:         56
        .size:           4
        .value_kind:     by_value
      - .actual_access:  read_only
        .address_space:  global
        .offset:         64
        .size:           8
        .value_kind:     global_buffer
      - .actual_access:  read_only
        .address_space:  global
        .offset:         72
        .size:           8
        .value_kind:     global_buffer
      - .address_space:  global
        .offset:         80
        .size:           8
        .value_kind:     global_buffer
    .group_segment_fixed_size: 0
    .kernarg_segment_align: 8
    .kernarg_segment_size: 88
    .language:       OpenCL C
    .language_version:
      - 2
      - 0
    .max_flat_workgroup_size: 120
    .name:           fft_rtc_back_len45_factors_5_3_3_wgs_120_tpt_15_halfLds_dp_ip_CI_sbrr_dirReg
    .private_segment_fixed_size: 0
    .sgpr_count:     25
    .sgpr_spill_count: 0
    .symbol:         fft_rtc_back_len45_factors_5_3_3_wgs_120_tpt_15_halfLds_dp_ip_CI_sbrr_dirReg.kd
    .uniform_work_group_size: 1
    .uses_dynamic_stack: false
    .vgpr_count:     45
    .vgpr_spill_count: 0
    .wavefront_size: 32
    .workgroup_processor_mode: 1
amdhsa.target:   amdgcn-amd-amdhsa--gfx1030
amdhsa.version:
  - 1
  - 2
...

	.end_amdgpu_metadata
